;; amdgpu-corpus repo=ROCm/rocFFT kind=compiled arch=gfx1030 opt=O3
	.text
	.amdgcn_target "amdgcn-amd-amdhsa--gfx1030"
	.amdhsa_code_object_version 6
	.protected	fft_rtc_fwd_len1287_factors_3_13_3_11_wgs_117_tpt_117_dp_ip_CI_unitstride_sbrr_dirReg ; -- Begin function fft_rtc_fwd_len1287_factors_3_13_3_11_wgs_117_tpt_117_dp_ip_CI_unitstride_sbrr_dirReg
	.globl	fft_rtc_fwd_len1287_factors_3_13_3_11_wgs_117_tpt_117_dp_ip_CI_unitstride_sbrr_dirReg
	.p2align	8
	.type	fft_rtc_fwd_len1287_factors_3_13_3_11_wgs_117_tpt_117_dp_ip_CI_unitstride_sbrr_dirReg,@function
fft_rtc_fwd_len1287_factors_3_13_3_11_wgs_117_tpt_117_dp_ip_CI_unitstride_sbrr_dirReg: ; @fft_rtc_fwd_len1287_factors_3_13_3_11_wgs_117_tpt_117_dp_ip_CI_unitstride_sbrr_dirReg
; %bb.0:
	s_clause 0x2
	s_load_dwordx4 s[8:11], s[4:5], 0x0
	s_load_dwordx2 s[2:3], s[4:5], 0x50
	s_load_dwordx2 s[12:13], s[4:5], 0x18
	v_mul_u32_u24_e32 v1, 0x231, v0
	v_mov_b32_e32 v3, 0
	v_add_nc_u32_sdwa v5, s6, v1 dst_sel:DWORD dst_unused:UNUSED_PAD src0_sel:DWORD src1_sel:WORD_1
	v_mov_b32_e32 v1, 0
	v_mov_b32_e32 v6, v3
	v_mov_b32_e32 v2, 0
	s_waitcnt lgkmcnt(0)
	v_cmp_lt_u64_e64 s0, s[10:11], 2
	s_and_b32 vcc_lo, exec_lo, s0
	s_cbranch_vccnz .LBB0_8
; %bb.1:
	s_load_dwordx2 s[0:1], s[4:5], 0x10
	v_mov_b32_e32 v1, 0
	s_add_u32 s6, s12, 8
	v_mov_b32_e32 v2, 0
	s_addc_u32 s7, s13, 0
	s_mov_b64 s[16:17], 1
	s_waitcnt lgkmcnt(0)
	s_add_u32 s14, s0, 8
	s_addc_u32 s15, s1, 0
.LBB0_2:                                ; =>This Inner Loop Header: Depth=1
	s_load_dwordx2 s[18:19], s[14:15], 0x0
                                        ; implicit-def: $vgpr7_vgpr8
	s_mov_b32 s0, exec_lo
	s_waitcnt lgkmcnt(0)
	v_or_b32_e32 v4, s19, v6
	v_cmpx_ne_u64_e32 0, v[3:4]
	s_xor_b32 s1, exec_lo, s0
	s_cbranch_execz .LBB0_4
; %bb.3:                                ;   in Loop: Header=BB0_2 Depth=1
	v_cvt_f32_u32_e32 v4, s18
	v_cvt_f32_u32_e32 v7, s19
	s_sub_u32 s0, 0, s18
	s_subb_u32 s20, 0, s19
	v_fmac_f32_e32 v4, 0x4f800000, v7
	v_rcp_f32_e32 v4, v4
	v_mul_f32_e32 v4, 0x5f7ffffc, v4
	v_mul_f32_e32 v7, 0x2f800000, v4
	v_trunc_f32_e32 v7, v7
	v_fmac_f32_e32 v4, 0xcf800000, v7
	v_cvt_u32_f32_e32 v7, v7
	v_cvt_u32_f32_e32 v4, v4
	v_mul_lo_u32 v8, s0, v7
	v_mul_hi_u32 v9, s0, v4
	v_mul_lo_u32 v10, s20, v4
	v_add_nc_u32_e32 v8, v9, v8
	v_mul_lo_u32 v9, s0, v4
	v_add_nc_u32_e32 v8, v8, v10
	v_mul_hi_u32 v10, v4, v9
	v_mul_lo_u32 v11, v4, v8
	v_mul_hi_u32 v12, v4, v8
	v_mul_hi_u32 v13, v7, v9
	v_mul_lo_u32 v9, v7, v9
	v_mul_hi_u32 v14, v7, v8
	v_mul_lo_u32 v8, v7, v8
	v_add_co_u32 v10, vcc_lo, v10, v11
	v_add_co_ci_u32_e32 v11, vcc_lo, 0, v12, vcc_lo
	v_add_co_u32 v9, vcc_lo, v10, v9
	v_add_co_ci_u32_e32 v9, vcc_lo, v11, v13, vcc_lo
	v_add_co_ci_u32_e32 v10, vcc_lo, 0, v14, vcc_lo
	v_add_co_u32 v8, vcc_lo, v9, v8
	v_add_co_ci_u32_e32 v9, vcc_lo, 0, v10, vcc_lo
	v_add_co_u32 v4, vcc_lo, v4, v8
	v_add_co_ci_u32_e32 v7, vcc_lo, v7, v9, vcc_lo
	v_mul_hi_u32 v8, s0, v4
	v_mul_lo_u32 v10, s20, v4
	v_mul_lo_u32 v9, s0, v7
	v_add_nc_u32_e32 v8, v8, v9
	v_mul_lo_u32 v9, s0, v4
	v_add_nc_u32_e32 v8, v8, v10
	v_mul_hi_u32 v10, v4, v9
	v_mul_lo_u32 v11, v4, v8
	v_mul_hi_u32 v12, v4, v8
	v_mul_hi_u32 v13, v7, v9
	v_mul_lo_u32 v9, v7, v9
	v_mul_hi_u32 v14, v7, v8
	v_mul_lo_u32 v8, v7, v8
	v_add_co_u32 v10, vcc_lo, v10, v11
	v_add_co_ci_u32_e32 v11, vcc_lo, 0, v12, vcc_lo
	v_add_co_u32 v9, vcc_lo, v10, v9
	v_add_co_ci_u32_e32 v9, vcc_lo, v11, v13, vcc_lo
	v_add_co_ci_u32_e32 v10, vcc_lo, 0, v14, vcc_lo
	v_add_co_u32 v8, vcc_lo, v9, v8
	v_add_co_ci_u32_e32 v9, vcc_lo, 0, v10, vcc_lo
	v_add_co_u32 v4, vcc_lo, v4, v8
	v_add_co_ci_u32_e32 v11, vcc_lo, v7, v9, vcc_lo
	v_mul_hi_u32 v13, v5, v4
	v_mad_u64_u32 v[9:10], null, v6, v4, 0
	v_mad_u64_u32 v[7:8], null, v5, v11, 0
	;; [unrolled: 1-line block ×3, first 2 shown]
	v_add_co_u32 v4, vcc_lo, v13, v7
	v_add_co_ci_u32_e32 v7, vcc_lo, 0, v8, vcc_lo
	v_add_co_u32 v4, vcc_lo, v4, v9
	v_add_co_ci_u32_e32 v4, vcc_lo, v7, v10, vcc_lo
	v_add_co_ci_u32_e32 v7, vcc_lo, 0, v12, vcc_lo
	v_add_co_u32 v4, vcc_lo, v4, v11
	v_add_co_ci_u32_e32 v9, vcc_lo, 0, v7, vcc_lo
	v_mul_lo_u32 v10, s19, v4
	v_mad_u64_u32 v[7:8], null, s18, v4, 0
	v_mul_lo_u32 v11, s18, v9
	v_sub_co_u32 v7, vcc_lo, v5, v7
	v_add3_u32 v8, v8, v11, v10
	v_sub_nc_u32_e32 v10, v6, v8
	v_subrev_co_ci_u32_e64 v10, s0, s19, v10, vcc_lo
	v_add_co_u32 v11, s0, v4, 2
	v_add_co_ci_u32_e64 v12, s0, 0, v9, s0
	v_sub_co_u32 v13, s0, v7, s18
	v_sub_co_ci_u32_e32 v8, vcc_lo, v6, v8, vcc_lo
	v_subrev_co_ci_u32_e64 v10, s0, 0, v10, s0
	v_cmp_le_u32_e32 vcc_lo, s18, v13
	v_cmp_eq_u32_e64 s0, s19, v8
	v_cndmask_b32_e64 v13, 0, -1, vcc_lo
	v_cmp_le_u32_e32 vcc_lo, s19, v10
	v_cndmask_b32_e64 v14, 0, -1, vcc_lo
	v_cmp_le_u32_e32 vcc_lo, s18, v7
	;; [unrolled: 2-line block ×3, first 2 shown]
	v_cndmask_b32_e64 v15, 0, -1, vcc_lo
	v_cmp_eq_u32_e32 vcc_lo, s19, v10
	v_cndmask_b32_e64 v7, v15, v7, s0
	v_cndmask_b32_e32 v10, v14, v13, vcc_lo
	v_add_co_u32 v13, vcc_lo, v4, 1
	v_add_co_ci_u32_e32 v14, vcc_lo, 0, v9, vcc_lo
	v_cmp_ne_u32_e32 vcc_lo, 0, v10
	v_cndmask_b32_e32 v8, v14, v12, vcc_lo
	v_cndmask_b32_e32 v10, v13, v11, vcc_lo
	v_cmp_ne_u32_e32 vcc_lo, 0, v7
	v_cndmask_b32_e32 v8, v9, v8, vcc_lo
	v_cndmask_b32_e32 v7, v4, v10, vcc_lo
.LBB0_4:                                ;   in Loop: Header=BB0_2 Depth=1
	s_andn2_saveexec_b32 s0, s1
	s_cbranch_execz .LBB0_6
; %bb.5:                                ;   in Loop: Header=BB0_2 Depth=1
	v_cvt_f32_u32_e32 v4, s18
	s_sub_i32 s1, 0, s18
	v_rcp_iflag_f32_e32 v4, v4
	v_mul_f32_e32 v4, 0x4f7ffffe, v4
	v_cvt_u32_f32_e32 v4, v4
	v_mul_lo_u32 v7, s1, v4
	v_mul_hi_u32 v7, v4, v7
	v_add_nc_u32_e32 v4, v4, v7
	v_mul_hi_u32 v4, v5, v4
	v_mul_lo_u32 v7, v4, s18
	v_add_nc_u32_e32 v8, 1, v4
	v_sub_nc_u32_e32 v7, v5, v7
	v_subrev_nc_u32_e32 v9, s18, v7
	v_cmp_le_u32_e32 vcc_lo, s18, v7
	v_cndmask_b32_e32 v7, v7, v9, vcc_lo
	v_cndmask_b32_e32 v4, v4, v8, vcc_lo
	v_cmp_le_u32_e32 vcc_lo, s18, v7
	v_add_nc_u32_e32 v8, 1, v4
	v_cndmask_b32_e32 v7, v4, v8, vcc_lo
	v_mov_b32_e32 v8, v3
.LBB0_6:                                ;   in Loop: Header=BB0_2 Depth=1
	s_or_b32 exec_lo, exec_lo, s0
	s_load_dwordx2 s[0:1], s[6:7], 0x0
	v_mul_lo_u32 v4, v8, s18
	v_mul_lo_u32 v11, v7, s19
	v_mad_u64_u32 v[9:10], null, v7, s18, 0
	s_add_u32 s16, s16, 1
	s_addc_u32 s17, s17, 0
	s_add_u32 s6, s6, 8
	s_addc_u32 s7, s7, 0
	;; [unrolled: 2-line block ×3, first 2 shown]
	v_add3_u32 v4, v10, v11, v4
	v_sub_co_u32 v5, vcc_lo, v5, v9
	v_sub_co_ci_u32_e32 v4, vcc_lo, v6, v4, vcc_lo
	s_waitcnt lgkmcnt(0)
	v_mul_lo_u32 v6, s1, v5
	v_mul_lo_u32 v4, s0, v4
	v_mad_u64_u32 v[1:2], null, s0, v5, v[1:2]
	v_cmp_ge_u64_e64 s0, s[16:17], s[10:11]
	s_and_b32 vcc_lo, exec_lo, s0
	v_add3_u32 v2, v6, v2, v4
	s_cbranch_vccnz .LBB0_9
; %bb.7:                                ;   in Loop: Header=BB0_2 Depth=1
	v_mov_b32_e32 v5, v7
	v_mov_b32_e32 v6, v8
	s_branch .LBB0_2
.LBB0_8:
	v_mov_b32_e32 v8, v6
	v_mov_b32_e32 v7, v5
.LBB0_9:
	s_lshl_b64 s[0:1], s[10:11], 3
	v_mul_hi_u32 v3, 0x2302303, v0
	s_add_u32 s0, s12, s0
	s_addc_u32 s1, s13, s1
	v_mov_b32_e32 v74, 0
	s_load_dwordx2 s[0:1], s[0:1], 0x0
	s_load_dwordx2 s[4:5], s[4:5], 0x20
                                        ; implicit-def: $vgpr34_vgpr35
                                        ; implicit-def: $vgpr46_vgpr47
                                        ; implicit-def: $vgpr42_vgpr43
                                        ; implicit-def: $vgpr22_vgpr23
                                        ; implicit-def: $vgpr30_vgpr31
                                        ; implicit-def: $vgpr26_vgpr27
                                        ; implicit-def: $vgpr14_vgpr15
                                        ; implicit-def: $vgpr38_vgpr39
                                        ; implicit-def: $vgpr18_vgpr19
                                        ; implicit-def: $vgpr10_vgpr11
	v_mul_u32_u24_e32 v3, 0x75, v3
	v_sub_nc_u32_e32 v52, v0, v3
	s_waitcnt lgkmcnt(0)
	v_mul_lo_u32 v4, s0, v8
	v_mul_lo_u32 v5, s1, v7
	v_mad_u64_u32 v[1:2], null, s0, v7, v[1:2]
	v_cmp_gt_u64_e32 vcc_lo, s[4:5], v[7:8]
                                        ; implicit-def: $vgpr6_vgpr7
	v_add3_u32 v2, v5, v2, v4
	v_lshlrev_b64 v[72:73], 4, v[1:2]
                                        ; implicit-def: $vgpr2_vgpr3
	s_and_saveexec_b32 s1, vcc_lo
	s_cbranch_execz .LBB0_13
; %bb.10:
	v_mov_b32_e32 v53, 0
	v_add_co_u32 v2, s0, s2, v72
	v_add_co_ci_u32_e64 v3, s0, s3, v73, s0
	v_lshlrev_b64 v[0:1], 4, v[52:53]
	s_mov_b32 s4, exec_lo
                                        ; implicit-def: $vgpr40_vgpr41
                                        ; implicit-def: $vgpr44_vgpr45
	v_add_co_u32 v34, s0, v2, v0
	v_add_co_ci_u32_e64 v35, s0, v3, v1, s0
	v_add_co_u32 v0, s0, 0x1800, v34
	v_add_co_ci_u32_e64 v1, s0, 0, v35, s0
	;; [unrolled: 2-line block ×8, first 2 shown]
	s_clause 0x8
	global_load_dwordx4 v[8:11], v[34:35], off
	global_load_dwordx4 v[4:7], v[34:35], off offset:1872
	global_load_dwordx4 v[16:19], v[0:1], off offset:720
	;; [unrolled: 1-line block ×8, first 2 shown]
                                        ; implicit-def: $vgpr32_vgpr33
	v_cmpx_gt_u32_e32 0x4e, v52
; %bb.11:
	v_add_co_u32 v32, s0, 0x1000, v34
	v_add_co_ci_u32_e64 v33, s0, 0, v35, s0
	v_add_co_u32 v34, s0, 0x4800, v34
	v_add_co_ci_u32_e64 v35, s0, 0, v35, s0
	s_clause 0x2
	global_load_dwordx4 v[40:43], v[32:33], off offset:1520
	global_load_dwordx4 v[44:47], v[46:47], off offset:192
	;; [unrolled: 1-line block ×3, first 2 shown]
; %bb.12:
	s_or_b32 exec_lo, exec_lo, s4
	v_mov_b32_e32 v74, v52
.LBB0_13:
	s_or_b32 exec_lo, exec_lo, s1
	s_waitcnt vmcnt(5)
	v_add_f64 v[48:49], v[0:1], v[16:17]
	v_add_f64 v[50:51], v[2:3], v[18:19]
	s_waitcnt vmcnt(3)
	v_add_f64 v[53:54], v[12:13], v[36:37]
	v_add_f64 v[55:56], v[14:15], v[38:39]
	;; [unrolled: 1-line block ×3, first 2 shown]
	s_waitcnt vmcnt(0)
	v_add_f64 v[61:62], v[20:21], v[28:29]
	v_add_f64 v[65:66], v[22:23], v[30:31]
	;; [unrolled: 1-line block ×4, first 2 shown]
	v_add_f64 v[75:76], v[38:39], -v[14:15]
	v_add_f64 v[38:39], v[34:35], v[46:47]
	v_add_f64 v[59:60], v[18:19], v[10:11]
	;; [unrolled: 1-line block ×3, first 2 shown]
	v_add_f64 v[18:19], v[18:19], -v[2:3]
	v_add_f64 v[16:17], v[16:17], -v[0:1]
	;; [unrolled: 1-line block ×4, first 2 shown]
	v_add_f64 v[81:82], v[44:45], v[40:41]
	v_add_f64 v[83:84], v[44:45], -v[32:33]
	s_mov_b32 s0, 0xe8584caa
	s_mov_b32 s1, 0x3febb67a
	;; [unrolled: 1-line block ×3, first 2 shown]
	v_fma_f64 v[8:9], v[48:49], -0.5, v[8:9]
	v_fma_f64 v[10:11], v[50:51], -0.5, v[10:11]
	v_add_f64 v[48:49], v[28:29], v[24:25]
	v_fma_f64 v[50:51], v[53:54], -0.5, v[4:5]
	v_add_f64 v[53:54], v[30:31], v[26:27]
	v_fma_f64 v[55:56], v[55:56], -0.5, v[6:7]
	v_add_f64 v[30:31], v[30:31], -v[22:23]
	v_fma_f64 v[28:29], v[61:62], -0.5, v[24:25]
	v_add_f64 v[61:62], v[46:47], v[42:43]
	v_fma_f64 v[65:66], v[65:66], -0.5, v[26:27]
	v_add_f64 v[46:47], v[46:47], -v[34:35]
	v_fma_f64 v[44:45], v[69:70], -0.5, v[40:41]
	v_add_f64 v[4:5], v[0:1], v[57:58]
	v_fma_f64 v[57:58], v[38:39], -0.5, v[42:43]
	s_mov_b32 s4, s0
	v_add_f64 v[6:7], v[2:3], v[59:60]
	v_add_f64 v[0:1], v[12:13], v[63:64]
	;; [unrolled: 1-line block ×4, first 2 shown]
	v_fma_f64 v[36:37], v[18:19], s[0:1], v[8:9]
	v_fma_f64 v[8:9], v[18:19], s[4:5], v[8:9]
	;; [unrolled: 1-line block ×8, first 2 shown]
	v_add_f64 v[20:21], v[20:21], v[48:49]
	v_add_f64 v[22:23], v[22:23], v[53:54]
	v_fma_f64 v[24:25], v[30:31], s[0:1], v[28:29]
	v_fma_f64 v[28:29], v[30:31], s[4:5], v[28:29]
	;; [unrolled: 1-line block ×6, first 2 shown]
	v_add_f64 v[34:35], v[34:35], v[61:62]
	v_fma_f64 v[42:43], v[83:84], s[4:5], v[57:58]
	v_fma_f64 v[46:47], v[83:84], s[0:1], v[57:58]
	v_mad_u32_u24 v48, v52, 48, 0
	v_cmp_gt_u32_e64 s0, 0x4e, v52
	ds_write_b128 v48, v[4:7]
	ds_write_b128 v48, v[0:3] offset:5616
	ds_write_b128 v48, v[36:39] offset:16
	;; [unrolled: 1-line block ×8, first 2 shown]
	s_and_saveexec_b32 s1, s0
	s_cbranch_execz .LBB0_15
; %bb.14:
	ds_write_b128 v48, v[32:35] offset:16848
	ds_write_b128 v48, v[40:43] offset:16864
	;; [unrolled: 1-line block ×3, first 2 shown]
.LBB0_15:
	s_or_b32 exec_lo, exec_lo, s1
	v_cmp_gt_u32_e64 s1, 0x63, v52
	s_waitcnt lgkmcnt(0)
	s_barrier
	buffer_gl0_inv
                                        ; implicit-def: $vgpr50_vgpr51
	s_and_saveexec_b32 s4, s1
	s_cbranch_execz .LBB0_17
; %bb.16:
	v_lshlrev_b32_e32 v0, 5, v52
	v_sub_nc_u32_e32 v48, v48, v0
	ds_read_b128 v[4:7], v48
	ds_read_b128 v[36:39], v48 offset:1584
	ds_read_b128 v[8:11], v48 offset:3168
	;; [unrolled: 1-line block ×12, first 2 shown]
.LBB0_17:
	s_or_b32 exec_lo, exec_lo, s4
	v_and_b32_e32 v71, 0xff, v52
	v_mov_b32_e32 v54, 12
	s_mov_b32 s10, 0x42a4c3d2
	s_mov_b32 s14, 0x2ef20147
	;; [unrolled: 1-line block ×3, first 2 shown]
	v_mul_lo_u16 v53, 0xab, v71
	s_mov_b32 s11, 0xbfea55e2
	s_mov_b32 s15, 0xbfedeba7
	;; [unrolled: 1-line block ×4, first 2 shown]
	v_lshrrev_b16 v189, 9, v53
	s_mov_b32 s6, 0xb2365da1
	s_mov_b32 s16, 0x4bc48dbf
	;; [unrolled: 1-line block ×4, first 2 shown]
	v_mul_lo_u16 v53, v189, 3
	s_mov_b32 s5, 0x3fe22d96
	s_mov_b32 s7, 0xbfd6b1d8
	;; [unrolled: 1-line block ×4, first 2 shown]
	v_sub_nc_u16 v190, v52, v53
	s_mov_b32 s23, 0x3fbedb7d
	s_mov_b32 s12, 0x93053d00
	;; [unrolled: 1-line block ×4, first 2 shown]
	v_mul_u32_u24_sdwa v53, v190, v54 dst_sel:DWORD dst_unused:UNUSED_PAD src0_sel:BYTE_0 src1_sel:DWORD
	s_mov_b32 s13, 0xbfef11f4
	s_mov_b32 s19, 0xbfe7f3cc
	;; [unrolled: 1-line block ×4, first 2 shown]
	v_lshlrev_b32_e32 v69, 4, v53
	s_mov_b32 s34, s14
	s_mov_b32 s28, 0xe00740e9
	;; [unrolled: 1-line block ×4, first 2 shown]
	s_clause 0xb
	global_load_dwordx4 v[53:56], v69, s[8:9]
	global_load_dwordx4 v[57:60], v69, s[8:9] offset:176
	global_load_dwordx4 v[61:64], v69, s[8:9] offset:16
	;; [unrolled: 1-line block ×11, first 2 shown]
	s_mov_b32 s37, 0x3fcea1e5
	s_mov_b32 s24, s26
	;; [unrolled: 1-line block ×7, first 2 shown]
	s_waitcnt vmcnt(0) lgkmcnt(0)
	s_barrier
	buffer_gl0_inv
	v_mul_f64 v[69:70], v[38:39], v[55:56]
	v_mul_f64 v[55:56], v[36:37], v[55:56]
	;; [unrolled: 1-line block ×8, first 2 shown]
	v_fma_f64 v[165:166], v[36:37], v[53:54], -v[69:70]
	v_fma_f64 v[167:168], v[38:39], v[53:54], v[55:56]
	v_fma_f64 v[38:39], v[50:51], v[57:58], v[107:108]
	v_fma_f64 v[36:37], v[48:49], v[57:58], -v[59:60]
	v_mul_f64 v[48:49], v[2:3], v[77:78]
	v_mul_f64 v[55:56], v[0:1], v[77:78]
	;; [unrolled: 1-line block ×7, first 2 shown]
	v_fma_f64 v[50:51], v[8:9], v[61:62], -v[109:110]
	v_fma_f64 v[53:54], v[10:11], v[61:62], v[63:64]
	v_fma_f64 v[46:47], v[46:47], v[65:66], v[67:68]
	v_fma_f64 v[44:45], v[44:45], v[65:66], -v[111:112]
	v_mul_f64 v[85:86], v[16:17], v[89:90]
	v_mul_f64 v[8:9], v[22:23], v[93:94]
	v_mul_f64 v[10:11], v[20:21], v[93:94]
	v_mul_f64 v[61:62], v[26:27], v[97:98]
	v_mul_f64 v[63:64], v[24:25], v[97:98]
	v_mul_f64 v[107:108], v[30:31], v[101:102]
	v_mul_f64 v[109:110], v[28:29], v[101:102]
	v_mul_f64 v[89:90], v[34:35], v[105:106]
	v_mul_f64 v[101:102], v[32:33], v[105:106]
	v_add_f64 v[169:170], v[167:168], -v[38:39]
	v_add_f64 v[171:172], v[165:166], -v[36:37]
	v_fma_f64 v[65:66], v[0:1], v[75:76], -v[48:49]
	v_fma_f64 v[67:68], v[2:3], v[75:76], v[55:56]
	v_add_f64 v[173:174], v[165:166], v[36:37]
	v_add_f64 v[175:176], v[167:168], v[38:39]
	v_fma_f64 v[57:58], v[42:43], v[83:84], v[57:58]
	v_fma_f64 v[55:56], v[40:41], v[83:84], -v[69:70]
	v_fma_f64 v[75:76], v[16:17], v[87:88], -v[81:82]
	;; [unrolled: 1-line block ×3, first 2 shown]
	v_fma_f64 v[77:78], v[14:15], v[79:80], v[77:78]
	v_add_f64 v[40:41], v[53:54], -v[46:47]
	v_add_f64 v[16:17], v[50:51], -v[44:45]
	v_fma_f64 v[79:80], v[18:19], v[87:88], v[85:86]
	v_fma_f64 v[81:82], v[20:21], v[91:92], -v[8:9]
	v_fma_f64 v[83:84], v[22:23], v[91:92], v[10:11]
	v_fma_f64 v[93:94], v[24:25], v[95:96], -v[61:62]
	v_fma_f64 v[97:98], v[26:27], v[95:96], v[63:64]
	v_add_f64 v[20:21], v[50:51], v[44:45]
	v_add_f64 v[48:49], v[53:54], v[46:47]
	v_fma_f64 v[89:90], v[32:33], v[103:104], -v[89:90]
	v_fma_f64 v[91:92], v[34:35], v[103:104], v[101:102]
	v_mul_f64 v[177:178], v[169:170], s[10:11]
	v_mul_f64 v[181:182], v[171:172], s[10:11]
	;; [unrolled: 1-line block ×6, first 2 shown]
	v_add_f64 v[32:33], v[67:68], -v[57:58]
	v_add_f64 v[18:19], v[65:66], -v[55:56]
	v_fma_f64 v[101:102], v[28:29], v[99:100], -v[107:108]
	v_fma_f64 v[103:104], v[30:31], v[99:100], v[109:110]
	v_add_f64 v[22:23], v[65:66], v[55:56]
	v_mul_f64 v[135:136], v[40:41], s[14:15]
	v_mul_f64 v[137:138], v[16:17], s[14:15]
	;; [unrolled: 1-line block ×6, first 2 shown]
	v_add_f64 v[61:62], v[67:68], v[57:58]
	v_add_f64 v[24:25], v[69:70], -v[89:90]
	v_add_f64 v[42:43], v[77:78], -v[91:92]
	v_fma_f64 v[0:1], v[173:174], s[4:5], v[177:178]
	v_fma_f64 v[2:3], v[175:176], s[4:5], -v[181:182]
	v_fma_f64 v[8:9], v[173:174], s[22:23], v[179:180]
	v_fma_f64 v[10:11], v[175:176], s[22:23], -v[183:184]
	;; [unrolled: 2-line block ×3, first 2 shown]
	v_mul_f64 v[141:142], v[32:33], s[16:17]
	v_mul_f64 v[143:144], v[18:19], s[16:17]
	;; [unrolled: 1-line block ×6, first 2 shown]
	v_fma_f64 v[30:31], v[20:21], s[6:7], v[135:136]
	v_fma_f64 v[34:35], v[48:49], s[6:7], -v[137:138]
	v_fma_f64 v[59:60], v[20:21], s[12:13], v[119:120]
	v_fma_f64 v[99:100], v[48:49], s[12:13], -v[121:122]
	;; [unrolled: 2-line block ×3, first 2 shown]
	v_add_f64 v[26:27], v[69:70], v[89:90]
	v_add_f64 v[87:88], v[77:78], v[91:92]
	v_add_f64 v[63:64], v[79:80], -v[103:104]
	v_add_f64 v[28:29], v[75:76], -v[101:102]
	v_add_f64 v[0:1], v[4:5], v[0:1]
	v_add_f64 v[2:3], v[6:7], v[2:3]
	;; [unrolled: 1-line block ×6, first 2 shown]
	v_mul_f64 v[149:150], v[42:43], s[20:21]
	v_mul_f64 v[153:154], v[24:25], s[20:21]
	;; [unrolled: 1-line block ×6, first 2 shown]
	v_fma_f64 v[127:128], v[22:23], s[12:13], v[141:142]
	v_fma_f64 v[131:132], v[61:62], s[12:13], -v[143:144]
	v_fma_f64 v[151:152], v[22:23], s[6:7], v[125:126]
	v_fma_f64 v[155:156], v[61:62], s[6:7], -v[129:130]
	;; [unrolled: 2-line block ×3, first 2 shown]
	v_mul_f64 v[157:158], v[63:64], s[24:25]
	v_mul_f64 v[159:160], v[28:29], s[24:25]
	v_add_f64 v[0:1], v[30:31], v[0:1]
	v_add_f64 v[2:3], v[34:35], v[2:3]
	;; [unrolled: 1-line block ×8, first 2 shown]
	v_add_f64 v[99:100], v[83:84], -v[97:98]
	v_add_f64 v[34:35], v[81:82], -v[93:94]
	v_mul_f64 v[145:146], v[63:64], s[10:11]
	v_mul_f64 v[147:148], v[28:29], s[10:11]
	;; [unrolled: 1-line block ×4, first 2 shown]
	v_fma_f64 v[191:192], v[26:27], s[18:19], v[149:150]
	v_fma_f64 v[193:194], v[87:88], s[18:19], -v[153:154]
	v_fma_f64 v[195:196], v[26:27], s[28:29], v[133:134]
	v_fma_f64 v[197:198], v[87:88], s[28:29], -v[139:140]
	;; [unrolled: 2-line block ×3, first 2 shown]
	v_add_f64 v[59:60], v[81:82], v[93:94]
	v_add_f64 v[111:112], v[83:84], v[97:98]
	;; [unrolled: 1-line block ×8, first 2 shown]
	v_fma_f64 v[203:204], v[30:31], s[22:23], v[157:158]
	v_fma_f64 v[205:206], v[107:108], s[22:23], -v[159:160]
	v_mul_f64 v[161:162], v[99:100], s[30:31]
	v_mul_f64 v[163:164], v[34:35], s[30:31]
	;; [unrolled: 1-line block ×6, first 2 shown]
	v_fma_f64 v[207:208], v[30:31], s[4:5], v[145:146]
	v_fma_f64 v[209:210], v[107:108], s[4:5], -v[147:148]
	v_fma_f64 v[211:212], v[30:31], s[12:13], v[117:118]
	v_fma_f64 v[213:214], v[107:108], s[12:13], -v[123:124]
	v_add_f64 v[0:1], v[191:192], v[0:1]
	v_add_f64 v[2:3], v[193:194], v[2:3]
	;; [unrolled: 1-line block ×6, first 2 shown]
	v_fma_f64 v[191:192], v[59:60], s[28:29], v[161:162]
	v_fma_f64 v[193:194], v[111:112], s[28:29], -v[163:164]
	v_fma_f64 v[195:196], v[59:60], s[18:19], v[151:152]
	v_fma_f64 v[197:198], v[111:112], s[18:19], -v[155:156]
	;; [unrolled: 2-line block ×3, first 2 shown]
	v_add_f64 v[0:1], v[203:204], v[0:1]
	v_add_f64 v[2:3], v[205:206], v[2:3]
	;; [unrolled: 1-line block ×12, first 2 shown]
	s_and_saveexec_b32 s33, s1
	s_cbranch_execz .LBB0_19
; %bb.18:
	v_mul_f64 v[191:192], v[175:176], s[6:7]
	v_mul_f64 v[193:194], v[175:176], s[18:19]
	s_mov_b32 s43, 0xbfddbe06
	s_mov_b32 s42, s30
	v_mul_f64 v[201:202], v[169:170], s[40:41]
	v_add_f64 v[209:210], v[4:5], v[165:166]
	v_mul_f64 v[221:222], v[111:112], s[22:23]
	v_mul_f64 v[223:224], v[99:100], s[24:25]
	v_add_f64 v[187:188], v[187:188], v[191:192]
	v_mul_f64 v[191:192], v[173:174], s[6:7]
	v_fma_f64 v[197:198], v[171:172], s[20:21], v[193:194]
	v_fma_f64 v[193:194], v[171:172], s[40:41], v[193:194]
	;; [unrolled: 1-line block ×3, first 2 shown]
	v_fma_f64 v[201:202], v[173:174], s[18:19], -v[201:202]
	v_add_f64 v[50:51], v[209:210], v[50:51]
	v_add_f64 v[187:188], v[6:7], v[187:188]
	v_add_f64 v[185:186], v[191:192], -v[185:186]
	v_mul_f64 v[191:192], v[175:176], s[22:23]
	v_add_f64 v[193:194], v[6:7], v[193:194]
	v_add_f64 v[201:202], v[4:5], v[201:202]
	;; [unrolled: 1-line block ×3, first 2 shown]
	v_mul_f64 v[65:66], v[26:27], s[22:23]
	v_add_f64 v[185:186], v[4:5], v[185:186]
	v_add_f64 v[183:184], v[183:184], v[191:192]
	v_mul_f64 v[191:192], v[175:176], s[4:5]
	v_add_f64 v[50:51], v[50:51], v[69:70]
	v_add_f64 v[65:66], v[65:66], -v[113:114]
	v_mul_f64 v[69:70], v[99:100], s[14:15]
	v_add_f64 v[183:184], v[6:7], v[183:184]
	v_add_f64 v[181:182], v[181:182], v[191:192]
	v_mul_f64 v[191:192], v[173:174], s[22:23]
	v_add_f64 v[50:51], v[50:51], v[75:76]
	v_add_f64 v[181:182], v[6:7], v[181:182]
	v_add_f64 v[179:180], v[191:192], -v[179:180]
	v_mul_f64 v[191:192], v[173:174], s[4:5]
	v_add_f64 v[50:51], v[50:51], v[81:82]
	v_add_f64 v[179:180], v[4:5], v[179:180]
	v_add_f64 v[177:178], v[191:192], -v[177:178]
	v_mul_f64 v[191:192], v[175:176], s[12:13]
	v_mul_f64 v[175:176], v[175:176], s[28:29]
	v_add_f64 v[50:51], v[50:51], v[93:94]
	v_add_f64 v[177:178], v[4:5], v[177:178]
	v_fma_f64 v[195:196], v[171:172], s[36:37], v[191:192]
	v_fma_f64 v[191:192], v[171:172], s[16:17], v[191:192]
	;; [unrolled: 1-line block ×4, first 2 shown]
	v_mul_f64 v[175:176], v[169:170], s[16:17]
	v_mul_f64 v[169:170], v[169:170], s[42:43]
	v_add_f64 v[50:51], v[50:51], v[101:102]
	v_add_f64 v[165:166], v[6:7], v[195:196]
	;; [unrolled: 1-line block ×5, first 2 shown]
	v_fma_f64 v[203:204], v[173:174], s[12:13], v[175:176]
	v_fma_f64 v[207:208], v[173:174], s[28:29], -v[169:170]
	v_fma_f64 v[169:170], v[173:174], s[28:29], v[169:170]
	v_fma_f64 v[175:176], v[173:174], s[12:13], -v[175:176]
	v_add_f64 v[173:174], v[6:7], v[167:168]
	v_add_f64 v[199:200], v[6:7], v[199:200]
	;; [unrolled: 1-line block ×7, first 2 shown]
	v_mul_f64 v[169:170], v[48:49], s[28:29]
	v_add_f64 v[175:176], v[4:5], v[175:176]
	v_add_f64 v[53:54], v[173:174], v[53:54]
	;; [unrolled: 1-line block ×3, first 2 shown]
	v_mul_f64 v[55:56], v[20:21], s[18:19]
	v_fma_f64 v[4:5], v[16:17], s[42:43], v[169:170]
	v_fma_f64 v[169:170], v[16:17], s[30:31], v[169:170]
	v_add_f64 v[53:54], v[53:54], v[67:68]
	v_mul_f64 v[67:68], v[30:31], s[12:13]
	v_add_f64 v[44:45], v[50:51], v[44:45]
	v_add_f64 v[55:56], v[55:56], -v[85:86]
	v_mul_f64 v[50:51], v[87:88], s[22:23]
	v_add_f64 v[4:5], v[4:5], v[165:166]
	v_mul_f64 v[165:166], v[40:41], s[30:31]
	v_add_f64 v[169:170], v[169:170], v[191:192]
	;; [unrolled: 2-line block ×3, first 2 shown]
	v_add_f64 v[36:37], v[44:45], v[36:37]
	v_mul_f64 v[44:45], v[61:62], s[28:29]
	v_add_f64 v[55:56], v[55:56], v[185:186]
	v_add_f64 v[50:51], v[115:116], v[50:51]
	v_add_f64 v[67:68], v[67:68], -v[117:118]
	v_fma_f64 v[6:7], v[20:21], s[28:29], v[165:166]
	v_fma_f64 v[165:166], v[20:21], s[28:29], -v[165:166]
	v_add_f64 v[53:54], v[53:54], v[79:80]
	v_add_f64 v[44:45], v[109:110], v[44:45]
	;; [unrolled: 1-line block ×3, first 2 shown]
	v_mul_f64 v[167:168], v[61:62], s[18:19]
	v_add_f64 v[165:166], v[165:166], v[175:176]
	v_mul_f64 v[175:176], v[48:49], s[4:5]
	v_add_f64 v[53:54], v[53:54], v[83:84]
	v_fma_f64 v[171:172], v[18:19], s[20:21], v[167:168]
	v_fma_f64 v[167:168], v[18:19], s[40:41], v[167:168]
	v_add_f64 v[53:54], v[53:54], v[97:98]
	v_add_f64 v[4:5], v[171:172], v[4:5]
	v_mul_f64 v[171:172], v[32:33], s[40:41]
	v_add_f64 v[167:168], v[167:168], v[169:170]
	v_add_f64 v[53:54], v[53:54], v[103:104]
	v_fma_f64 v[211:212], v[22:23], s[18:19], v[171:172]
	v_fma_f64 v[169:170], v[22:23], s[18:19], -v[171:172]
	v_fma_f64 v[171:172], v[59:60], s[22:23], -v[223:224]
	v_add_f64 v[53:54], v[53:54], v[91:92]
	v_add_f64 v[6:7], v[211:212], v[6:7]
	v_mul_f64 v[211:212], v[87:88], s[4:5]
	v_add_f64 v[165:166], v[169:170], v[165:166]
	v_add_f64 v[53:54], v[53:54], v[57:58]
	v_mul_f64 v[57:58], v[22:23], s[28:29]
	v_fma_f64 v[213:214], v[24:25], s[10:11], v[211:212]
	v_fma_f64 v[169:170], v[24:25], s[38:39], v[211:212]
	v_add_f64 v[46:47], v[53:54], v[46:47]
	v_add_f64 v[57:58], v[57:58], -v[105:106]
	v_mul_f64 v[53:54], v[107:108], s[12:13]
	v_add_f64 v[4:5], v[213:214], v[4:5]
	v_mul_f64 v[213:214], v[42:43], s[38:39]
	v_add_f64 v[167:168], v[169:170], v[167:168]
	v_add_f64 v[38:39], v[46:47], v[38:39]
	v_mul_f64 v[46:47], v[48:49], s[18:19]
	v_add_f64 v[53:54], v[123:124], v[53:54]
	v_fma_f64 v[215:216], v[26:27], s[4:5], v[213:214]
	v_fma_f64 v[169:170], v[26:27], s[4:5], -v[213:214]
	v_add_f64 v[46:47], v[95:96], v[46:47]
	v_add_f64 v[6:7], v[215:216], v[6:7]
	v_mul_f64 v[215:216], v[107:108], s[6:7]
	v_add_f64 v[165:166], v[169:170], v[165:166]
	v_add_f64 v[46:47], v[46:47], v[187:188]
	v_fma_f64 v[217:218], v[28:29], s[34:35], v[215:216]
	v_fma_f64 v[169:170], v[28:29], s[14:15], v[215:216]
	v_add_f64 v[44:45], v[44:45], v[46:47]
	v_add_f64 v[46:47], v[57:58], v[55:56]
	v_mul_f64 v[55:56], v[111:112], s[4:5]
	v_mul_f64 v[57:58], v[87:88], s[12:13]
	v_add_f64 v[4:5], v[217:218], v[4:5]
	v_mul_f64 v[217:218], v[63:64], s[14:15]
	v_add_f64 v[167:168], v[169:170], v[167:168]
	v_add_f64 v[44:45], v[50:51], v[44:45]
	v_add_f64 v[46:47], v[65:66], v[46:47]
	v_mul_f64 v[50:51], v[59:60], s[4:5]
	v_add_f64 v[55:56], v[131:132], v[55:56]
	v_fma_f64 v[169:170], v[30:31], s[6:7], -v[217:218]
	v_fma_f64 v[219:220], v[30:31], s[6:7], v[217:218]
	v_add_f64 v[44:45], v[53:54], v[44:45]
	v_add_f64 v[53:54], v[67:68], v[46:47]
	v_add_f64 v[50:51], v[50:51], -v[127:128]
	v_mul_f64 v[67:68], v[111:112], s[6:7]
	v_add_f64 v[165:166], v[169:170], v[165:166]
	v_fma_f64 v[169:170], v[34:35], s[24:25], v[221:222]
	v_add_f64 v[219:220], v[219:220], v[6:7]
	v_fma_f64 v[6:7], v[34:35], s[26:27], v[221:222]
	v_mul_f64 v[221:222], v[111:112], s[12:13]
	v_add_f64 v[46:47], v[55:56], v[44:45]
	v_add_f64 v[44:45], v[50:51], v[53:54]
	v_mul_f64 v[53:54], v[61:62], s[4:5]
	v_add_f64 v[165:166], v[171:172], v[165:166]
	v_add_f64 v[167:168], v[169:170], v[167:168]
	v_fma_f64 v[169:170], v[16:17], s[10:11], v[175:176]
	v_fma_f64 v[171:172], v[20:21], s[4:5], -v[191:192]
	v_add_f64 v[6:7], v[6:7], v[4:5]
	v_fma_f64 v[4:5], v[59:60], s[22:23], v[223:224]
	v_mul_f64 v[223:224], v[99:100], s[16:17]
	v_fma_f64 v[55:56], v[18:19], s[10:11], v[53:54]
	v_fma_f64 v[53:54], v[18:19], s[38:39], v[53:54]
	v_add_f64 v[169:170], v[169:170], v[199:200]
	v_mul_f64 v[199:200], v[61:62], s[22:23]
	v_add_f64 v[171:172], v[171:172], v[203:204]
	v_add_f64 v[4:5], v[4:5], v[219:220]
	v_fma_f64 v[203:204], v[18:19], s[26:27], v[199:200]
	v_fma_f64 v[18:19], v[18:19], s[24:25], v[199:200]
	v_add_f64 v[169:170], v[203:204], v[169:170]
	v_mul_f64 v[203:204], v[32:33], s[26:27]
	v_mul_f64 v[32:33], v[32:33], s[10:11]
	v_fma_f64 v[211:212], v[22:23], s[22:23], -v[203:204]
	v_add_f64 v[171:172], v[211:212], v[171:172]
	v_mul_f64 v[211:212], v[87:88], s[6:7]
	v_fma_f64 v[213:214], v[24:25], s[14:15], v[211:212]
	v_add_f64 v[169:170], v[213:214], v[169:170]
	v_mul_f64 v[213:214], v[42:43], s[14:15]
	v_fma_f64 v[215:216], v[26:27], s[6:7], -v[213:214]
	v_add_f64 v[171:172], v[215:216], v[171:172]
	v_mul_f64 v[215:216], v[107:108], s[18:19]
	v_fma_f64 v[217:218], v[28:29], s[40:41], v[215:216]
	v_add_f64 v[169:170], v[217:218], v[169:170]
	v_mul_f64 v[217:218], v[63:64], s[40:41]
	v_mul_f64 v[63:64], v[63:64], s[30:31]
	v_fma_f64 v[219:220], v[30:31], s[18:19], -v[217:218]
	v_add_f64 v[219:220], v[219:220], v[171:172]
	v_fma_f64 v[171:172], v[34:35], s[16:17], v[221:222]
	v_add_f64 v[171:172], v[171:172], v[169:170]
	v_fma_f64 v[169:170], v[59:60], s[12:13], -v[223:224]
	v_add_f64 v[169:170], v[169:170], v[219:220]
	v_mul_f64 v[219:220], v[48:49], s[6:7]
	v_add_f64 v[137:138], v[137:138], v[219:220]
	v_mul_f64 v[219:220], v[20:21], s[6:7]
	v_add_f64 v[137:138], v[137:138], v[181:182]
	v_add_f64 v[135:136], v[219:220], -v[135:136]
	v_mul_f64 v[219:220], v[61:62], s[12:13]
	v_mul_f64 v[181:182], v[107:108], s[22:23]
	v_add_f64 v[135:136], v[135:136], v[177:178]
	v_add_f64 v[143:144], v[143:144], v[219:220]
	v_mul_f64 v[219:220], v[22:23], s[12:13]
	v_add_f64 v[159:160], v[159:160], v[181:182]
	v_add_f64 v[137:138], v[143:144], v[137:138]
	v_add_f64 v[141:142], v[219:220], -v[141:142]
	v_mul_f64 v[219:220], v[87:88], s[18:19]
	v_mul_f64 v[143:144], v[30:31], s[22:23]
	v_add_f64 v[135:136], v[141:142], v[135:136]
	v_add_f64 v[153:154], v[153:154], v[219:220]
	v_mul_f64 v[141:142], v[111:112], s[28:29]
	v_mul_f64 v[219:220], v[26:27], s[18:19]
	v_add_f64 v[143:144], v[143:144], -v[157:158]
	v_add_f64 v[137:138], v[153:154], v[137:138]
	v_add_f64 v[141:142], v[163:164], v[141:142]
	v_add_f64 v[149:150], v[219:220], -v[149:150]
	v_add_f64 v[137:138], v[159:160], v[137:138]
	v_add_f64 v[135:136], v[149:150], v[135:136]
	v_mul_f64 v[149:150], v[59:60], s[28:29]
	v_add_f64 v[137:138], v[141:142], v[137:138]
	v_mul_f64 v[141:142], v[48:49], s[12:13]
	v_mul_f64 v[48:49], v[48:49], s[22:23]
	v_add_f64 v[149:150], v[149:150], -v[161:162]
	v_add_f64 v[135:136], v[143:144], v[135:136]
	v_add_f64 v[121:122], v[121:122], v[141:142]
	v_fma_f64 v[50:51], v[16:17], s[24:25], v[48:49]
	v_mul_f64 v[141:142], v[20:21], s[12:13]
	v_fma_f64 v[48:49], v[16:17], s[26:27], v[48:49]
	v_fma_f64 v[16:17], v[16:17], s[38:39], v[175:176]
	v_add_f64 v[135:136], v[149:150], v[135:136]
	v_add_f64 v[121:122], v[121:122], v[183:184]
	;; [unrolled: 1-line block ×3, first 2 shown]
	v_add_f64 v[119:120], v[141:142], -v[119:120]
	v_mul_f64 v[141:142], v[61:62], s[6:7]
	v_fma_f64 v[61:62], v[24:25], s[36:37], v[57:58]
	v_add_f64 v[48:49], v[48:49], v[195:196]
	v_add_f64 v[16:17], v[16:17], v[205:206]
	;; [unrolled: 1-line block ×3, first 2 shown]
	v_mul_f64 v[55:56], v[40:41], s[24:25]
	v_add_f64 v[129:130], v[129:130], v[141:142]
	v_mul_f64 v[141:142], v[22:23], s[6:7]
	v_add_f64 v[119:120], v[119:120], v[179:180]
	v_add_f64 v[48:49], v[53:54], v[48:49]
	;; [unrolled: 1-line block ×3, first 2 shown]
	v_fma_f64 v[18:19], v[26:27], s[6:7], v[213:214]
	v_fma_f64 v[53:54], v[59:60], s[6:7], v[69:70]
	v_add_f64 v[50:51], v[61:62], v[50:51]
	v_fma_f64 v[40:41], v[20:21], s[22:23], -v[55:56]
	v_fma_f64 v[61:62], v[22:23], s[4:5], -v[32:33]
	v_fma_f64 v[32:33], v[22:23], s[4:5], v[32:33]
	v_add_f64 v[125:126], v[141:142], -v[125:126]
	v_mul_f64 v[141:142], v[87:88], s[28:29]
	v_add_f64 v[121:122], v[129:130], v[121:122]
	v_mul_f64 v[129:130], v[26:27], s[28:29]
	v_fma_f64 v[22:23], v[22:23], s[22:23], v[203:204]
	v_add_f64 v[40:41], v[40:41], v[201:202]
	v_add_f64 v[119:120], v[125:126], v[119:120]
	;; [unrolled: 1-line block ×3, first 2 shown]
	v_mul_f64 v[125:126], v[107:108], s[4:5]
	v_add_f64 v[129:130], v[129:130], -v[133:134]
	v_mul_f64 v[133:134], v[30:31], s[4:5]
	v_add_f64 v[40:41], v[61:62], v[40:41]
	v_mul_f64 v[61:62], v[107:108], s[28:29]
	v_add_f64 v[121:122], v[139:140], v[121:122]
	v_add_f64 v[125:126], v[147:148], v[125:126]
	;; [unrolled: 1-line block ×3, first 2 shown]
	v_add_f64 v[133:134], v[133:134], -v[145:146]
	v_mul_f64 v[129:130], v[111:112], s[18:19]
	v_fma_f64 v[65:66], v[28:29], s[30:31], v[61:62]
	v_add_f64 v[121:122], v[125:126], v[121:122]
	v_mul_f64 v[125:126], v[59:60], s[18:19]
	v_add_f64 v[119:120], v[133:134], v[119:120]
	v_add_f64 v[129:130], v[155:156], v[129:130]
	v_add_f64 v[50:51], v[65:66], v[50:51]
	v_mul_f64 v[65:66], v[42:43], s[36:37]
	v_add_f64 v[125:126], v[125:126], -v[151:152]
	v_add_f64 v[121:122], v[129:130], v[121:122]
	v_fma_f64 v[42:43], v[26:27], s[12:13], -v[65:66]
	v_add_f64 v[119:120], v[125:126], v[119:120]
	v_add_f64 v[40:41], v[42:43], v[40:41]
	v_fma_f64 v[42:43], v[30:31], s[28:29], -v[63:64]
	v_add_f64 v[40:41], v[42:43], v[40:41]
	v_fma_f64 v[42:43], v[34:35], s[14:15], v[67:68]
	v_add_f64 v[42:43], v[42:43], v[50:51]
	v_fma_f64 v[50:51], v[59:60], s[6:7], -v[69:70]
	v_add_f64 v[40:41], v[50:51], v[40:41]
	v_fma_f64 v[50:51], v[20:21], s[22:23], v[55:56]
	v_fma_f64 v[20:21], v[20:21], s[4:5], v[191:192]
	v_add_f64 v[50:51], v[50:51], v[197:198]
	v_add_f64 v[20:21], v[20:21], v[207:208]
	v_add_f64 v[32:33], v[32:33], v[50:51]
	v_fma_f64 v[50:51], v[24:25], s[16:17], v[57:58]
	v_fma_f64 v[24:25], v[24:25], s[34:35], v[211:212]
	v_add_f64 v[20:21], v[22:23], v[20:21]
	v_fma_f64 v[22:23], v[28:29], s[20:21], v[215:216]
	v_add_f64 v[48:49], v[50:51], v[48:49]
	;; [unrolled: 2-line block ×7, first 2 shown]
	v_mov_b32_e32 v26, 0x270
	v_mov_b32_e32 v27, 4
	v_add_f64 v[32:33], v[50:51], v[32:33]
	v_fma_f64 v[50:51], v[30:31], s[28:29], v[63:64]
	v_add_f64 v[18:19], v[20:21], v[16:17]
	v_add_f64 v[16:17], v[22:23], v[24:25]
	v_mul_u32_u24_sdwa v20, v189, v26 dst_sel:DWORD dst_unused:UNUSED_PAD src0_sel:WORD_0 src1_sel:DWORD
	v_lshlrev_b32_sdwa v21, v27, v190 dst_sel:DWORD dst_unused:UNUSED_PAD src0_sel:DWORD src1_sel:BYTE_0
	v_add3_u32 v20, 0, v20, v21
	v_add_f64 v[32:33], v[50:51], v[32:33]
	v_fma_f64 v[50:51], v[34:35], s[34:35], v[67:68]
	v_add_f64 v[50:51], v[50:51], v[48:49]
	v_add_f64 v[48:49], v[53:54], v[32:33]
	ds_write_b128 v20, v[36:39]
	ds_write_b128 v20, v[169:172] offset:48
	ds_write_b128 v20, v[135:138] offset:96
	;; [unrolled: 1-line block ×12, first 2 shown]
.LBB0_19:
	s_or_b32 exec_lo, exec_lo, s33
	v_lshl_add_u32 v75, v52, 4, 0
	s_waitcnt lgkmcnt(0)
	s_barrier
	buffer_gl0_inv
	ds_read_b128 v[16:19], v75
	ds_read_b128 v[4:7], v75 offset:1872
	ds_read_b128 v[28:31], v75 offset:13728
	;; [unrolled: 1-line block ×8, first 2 shown]
	s_and_saveexec_b32 s1, s0
	s_cbranch_execz .LBB0_21
; %bb.20:
	ds_read_b128 v[0:3], v75 offset:5616
	ds_read_b128 v[8:11], v75 offset:12480
	;; [unrolled: 1-line block ×3, first 2 shown]
.LBB0_21:
	s_or_b32 exec_lo, exec_lo, s1
	v_add_nc_u16 v50, v52, 0x75
	v_mul_lo_u16 v51, 0xa5, v71
	v_add_nc_u32_e32 v53, 0xea, v52
	v_mov_b32_e32 v48, 0xa41b
	s_mov_b32 s4, 0xe8584caa
	v_and_b32_e32 v49, 0xff, v50
	v_lshrrev_b16 v51, 8, v51
	s_mov_b32 s5, 0x3febb67a
	v_mul_u32_u24_sdwa v54, v53, v48 dst_sel:DWORD dst_unused:UNUSED_PAD src0_sel:WORD_0 src1_sel:DWORD
	s_mov_b32 s7, 0xbfebb67a
	v_mul_lo_u16 v49, 0xa5, v49
	v_sub_nc_u16 v55, v52, v51
	s_mov_b32 s6, s4
	v_lshrrev_b32_e32 v54, 16, v54
	v_lshrrev_b16 v49, 8, v49
	v_lshrrev_b16 v55, 1, v55
	v_sub_nc_u16 v57, v53, v54
	v_sub_nc_u16 v56, v50, v49
	v_and_b32_e32 v55, 0x7f, v55
	v_lshrrev_b16 v57, 1, v57
	v_lshrrev_b16 v56, 1, v56
	v_add_nc_u16 v51, v55, v51
	v_add_nc_u16 v54, v57, v54
	v_and_b32_e32 v56, 0x7f, v56
	v_lshrrev_b16 v51, 5, v51
	v_lshrrev_b16 v71, 5, v54
	v_add_nc_u16 v49, v56, v49
	v_and_b32_e32 v92, 7, v51
	v_mul_lo_u16 v51, v71, 39
	v_lshrrev_b16 v49, 5, v49
	v_mul_lo_u16 v54, v92, 39
	v_sub_nc_u16 v94, v53, v51
	v_and_b32_e32 v93, 7, v49
	v_mov_b32_e32 v49, 5
	v_sub_nc_u16 v95, v52, v54
	v_mul_lo_u16 v51, v93, 39
	v_lshlrev_b32_sdwa v57, v49, v94 dst_sel:DWORD dst_unused:UNUSED_PAD src0_sel:DWORD src1_sel:WORD_0
	s_clause 0x1
	global_load_dwordx4 v[53:56], v57, s[8:9] offset:592
	global_load_dwordx4 v[57:60], v57, s[8:9] offset:576
	v_sub_nc_u16 v96, v50, v51
	v_lshlrev_b32_sdwa v50, v49, v95 dst_sel:DWORD dst_unused:UNUSED_PAD src0_sel:DWORD src1_sel:BYTE_0
	v_lshlrev_b32_sdwa v51, v49, v96 dst_sel:DWORD dst_unused:UNUSED_PAD src0_sel:DWORD src1_sel:BYTE_0
	s_clause 0x3
	global_load_dwordx4 v[61:64], v50, s[8:9] offset:576
	global_load_dwordx4 v[65:68], v50, s[8:9] offset:592
	global_load_dwordx4 v[76:79], v51, s[8:9] offset:576
	global_load_dwordx4 v[80:83], v51, s[8:9] offset:592
	s_waitcnt vmcnt(0) lgkmcnt(0)
	s_barrier
	buffer_gl0_inv
	v_mul_f64 v[69:70], v[38:39], v[55:56]
	v_mul_f64 v[50:51], v[34:35], v[59:60]
	v_mul_f64 v[59:60], v[32:33], v[59:60]
	v_mul_f64 v[55:56], v[36:37], v[55:56]
	v_mul_f64 v[84:85], v[46:47], v[63:64]
	v_mul_f64 v[86:87], v[30:31], v[67:68]
	v_mul_f64 v[63:64], v[44:45], v[63:64]
	v_mul_f64 v[67:68], v[28:29], v[67:68]
	v_mul_f64 v[88:89], v[42:43], v[78:79]
	v_mul_f64 v[90:91], v[26:27], v[82:83]
	v_mul_f64 v[78:79], v[40:41], v[78:79]
	v_mul_f64 v[82:83], v[24:25], v[82:83]
	v_fma_f64 v[36:37], v[36:37], v[53:54], -v[69:70]
	v_fma_f64 v[32:33], v[32:33], v[57:58], -v[50:51]
	v_fma_f64 v[34:35], v[34:35], v[57:58], v[59:60]
	v_fma_f64 v[38:39], v[38:39], v[53:54], v[55:56]
	v_fma_f64 v[44:45], v[44:45], v[61:62], -v[84:85]
	v_fma_f64 v[28:29], v[28:29], v[65:66], -v[86:87]
	v_fma_f64 v[46:47], v[46:47], v[61:62], v[63:64]
	v_fma_f64 v[30:31], v[30:31], v[65:66], v[67:68]
	;; [unrolled: 4-line block ×3, first 2 shown]
	v_add_f64 v[50:51], v[32:33], v[36:37]
	v_add_f64 v[63:64], v[20:21], v[32:33]
	;; [unrolled: 1-line block ×3, first 2 shown]
	v_add_f64 v[65:66], v[34:35], -v[38:39]
	v_add_f64 v[34:35], v[22:23], v[34:35]
	v_add_f64 v[67:68], v[16:17], v[44:45]
	;; [unrolled: 1-line block ×3, first 2 shown]
	v_add_f64 v[44:45], v[44:45], -v[28:29]
	v_add_f64 v[55:56], v[46:47], v[30:31]
	v_add_f64 v[69:70], v[46:47], -v[30:31]
	v_add_f64 v[57:58], v[40:41], v[24:25]
	v_add_f64 v[46:47], v[18:19], v[46:47]
	v_add_f64 v[59:60], v[42:43], v[26:27]
	v_add_f64 v[76:77], v[4:5], v[40:41]
	v_add_f64 v[78:79], v[6:7], v[42:43]
	v_add_f64 v[42:43], v[42:43], -v[26:27]
	v_add_f64 v[80:81], v[40:41], -v[24:25]
	v_fma_f64 v[50:51], v[50:51], -0.5, v[20:21]
	v_fma_f64 v[61:62], v[61:62], -0.5, v[22:23]
	v_add_f64 v[20:21], v[67:68], v[28:29]
	v_fma_f64 v[53:54], v[53:54], -0.5, v[16:17]
	v_add_f64 v[16:17], v[63:64], v[36:37]
	;; [unrolled: 2-line block ×4, first 2 shown]
	v_fma_f64 v[5:6], v[59:60], -0.5, v[6:7]
	v_add_f64 v[59:60], v[32:33], -v[36:37]
	v_add_f64 v[24:25], v[76:77], v[24:25]
	v_add_f64 v[26:27], v[78:79], v[26:27]
	v_mov_b32_e32 v7, 0x750
	v_mov_b32_e32 v4, 4
	v_fma_f64 v[28:29], v[65:66], s[4:5], v[50:51]
	v_fma_f64 v[32:33], v[69:70], s[4:5], v[53:54]
	;; [unrolled: 1-line block ×12, first 2 shown]
	v_mul_u32_u24_sdwa v6, v92, v7 dst_sel:DWORD dst_unused:UNUSED_PAD src0_sel:WORD_0 src1_sel:DWORD
	v_lshlrev_b32_sdwa v51, v4, v95 dst_sel:DWORD dst_unused:UNUSED_PAD src0_sel:DWORD src1_sel:BYTE_0
	v_mul_u32_u24_sdwa v5, v71, v7 dst_sel:DWORD dst_unused:UNUSED_PAD src0_sel:WORD_0 src1_sel:DWORD
	v_mul_u32_u24_sdwa v7, v93, v7 dst_sel:DWORD dst_unused:UNUSED_PAD src0_sel:WORD_0 src1_sel:DWORD
	v_lshlrev_b32_sdwa v57, v4, v96 dst_sel:DWORD dst_unused:UNUSED_PAD src0_sel:DWORD src1_sel:BYTE_0
	v_lshlrev_b32_sdwa v50, v4, v94 dst_sel:DWORD dst_unused:UNUSED_PAD src0_sel:DWORD src1_sel:WORD_0
	v_add3_u32 v6, 0, v6, v51
	v_add3_u32 v7, 0, v7, v57
	;; [unrolled: 1-line block ×3, first 2 shown]
	ds_write_b128 v6, v[20:23]
	ds_write_b128 v6, v[32:35] offset:624
	ds_write_b128 v6, v[36:39] offset:1248
	ds_write_b128 v7, v[24:27]
	ds_write_b128 v7, v[40:43] offset:624
	ds_write_b128 v7, v[44:47] offset:1248
	;; [unrolled: 3-line block ×3, first 2 shown]
	s_and_saveexec_b32 s1, s0
	s_cbranch_execz .LBB0_23
; %bb.22:
	v_add_nc_u32_e32 v5, 0x15f, v52
	v_mul_u32_u24_sdwa v6, v5, v48 dst_sel:DWORD dst_unused:UNUSED_PAD src0_sel:WORD_0 src1_sel:DWORD
	v_lshrrev_b32_e32 v6, 16, v6
	v_sub_nc_u16 v7, v5, v6
	v_lshrrev_b16 v7, 1, v7
	v_add_nc_u16 v6, v7, v6
	v_lshrrev_b16 v26, 5, v6
	v_mul_lo_u16 v6, v26, 39
	v_sub_nc_u16 v27, v5, v6
	v_lshlrev_b32_sdwa v5, v49, v27 dst_sel:DWORD dst_unused:UNUSED_PAD src0_sel:DWORD src1_sel:WORD_0
	s_clause 0x1
	global_load_dwordx4 v[16:19], v5, s[8:9] offset:576
	global_load_dwordx4 v[20:23], v5, s[8:9] offset:592
	s_waitcnt vmcnt(1)
	v_mul_f64 v[5:6], v[8:9], v[18:19]
	s_waitcnt vmcnt(0)
	v_mul_f64 v[24:25], v[12:13], v[22:23]
	v_mul_f64 v[18:19], v[10:11], v[18:19]
	;; [unrolled: 1-line block ×3, first 2 shown]
	v_fma_f64 v[5:6], v[10:11], v[16:17], v[5:6]
	v_fma_f64 v[10:11], v[14:15], v[20:21], v[24:25]
	v_fma_f64 v[7:8], v[8:9], v[16:17], -v[18:19]
	v_fma_f64 v[12:13], v[12:13], v[20:21], -v[22:23]
	v_add_f64 v[20:21], v[2:3], v[5:6]
	v_add_f64 v[14:15], v[5:6], v[10:11]
	v_add_f64 v[5:6], v[5:6], -v[10:11]
	v_add_f64 v[16:17], v[7:8], v[12:13]
	v_add_f64 v[18:19], v[7:8], -v[12:13]
	v_add_f64 v[7:8], v[0:1], v[7:8]
	v_fma_f64 v[14:15], v[14:15], -0.5, v[2:3]
	v_add_f64 v[2:3], v[20:21], v[10:11]
	v_fma_f64 v[16:17], v[16:17], -0.5, v[0:1]
	v_add_f64 v[0:1], v[7:8], v[12:13]
	v_mul_lo_u16 v13, 0x75, v26
	v_lshlrev_b32_sdwa v13, v4, v13 dst_sel:DWORD dst_unused:UNUSED_PAD src0_sel:DWORD src1_sel:WORD_0
	v_lshlrev_b32_sdwa v4, v4, v27 dst_sel:DWORD dst_unused:UNUSED_PAD src0_sel:DWORD src1_sel:WORD_0
	v_add3_u32 v4, 0, v4, v13
	v_fma_f64 v[11:12], v[18:19], s[6:7], v[14:15]
	v_fma_f64 v[7:8], v[18:19], s[4:5], v[14:15]
	;; [unrolled: 1-line block ×4, first 2 shown]
	ds_write_b128 v4, v[0:3]
	ds_write_b128 v4, v[9:12] offset:624
	ds_write_b128 v4, v[5:8] offset:1248
.LBB0_23:
	s_or_b32 exec_lo, exec_lo, s1
	s_waitcnt lgkmcnt(0)
	s_barrier
	buffer_gl0_inv
	s_and_saveexec_b32 s0, vcc_lo
	s_cbranch_execz .LBB0_25
; %bb.24:
	v_mul_u32_u24_e32 v0, 10, v52
	s_mov_b32 s0, 0x640f44db
	s_mov_b32 s10, 0x43842ef
	s_mov_b32 s4, 0xd9c712b6
	s_mov_b32 s6, 0x7f775887
	v_lshlrev_b32_e32 v8, 4, v0
	s_mov_b32 s12, 0xbb3a28a1
	s_mov_b32 s14, 0x8764f0ba
	;; [unrolled: 1-line block ×4, first 2 shown]
	s_clause 0x9
	global_load_dwordx4 v[4:7], v8, s[8:9] offset:1888
	global_load_dwordx4 v[0:3], v8, s[8:9] offset:1904
	;; [unrolled: 1-line block ×10, first 2 shown]
	ds_read_b128 v[68:71], v75 offset:9360
	ds_read_b128 v[44:47], v75 offset:7488
	;; [unrolled: 1-line block ×8, first 2 shown]
	ds_read_b128 v[8:11], v75
	ds_read_b128 v[80:83], v75 offset:1872
	ds_read_b128 v[84:87], v75 offset:18720
	s_mov_b32 s8, 0x8eee2c13
	s_mov_b32 s20, 0xfd768dbf
	;; [unrolled: 1-line block ×22, first 2 shown]
	v_mov_b32_e32 v75, 0
	v_add_co_u32 v88, vcc_lo, s2, v72
	v_add_co_ci_u32_e32 v89, vcc_lo, s3, v73, vcc_lo
	v_lshlrev_b64 v[72:73], 4, v[74:75]
	v_add_co_u32 v72, vcc_lo, v88, v72
	v_add_co_ci_u32_e32 v73, vcc_lo, v89, v73, vcc_lo
	v_add_co_u32 v74, vcc_lo, 0x800, v72
	v_add_co_ci_u32_e32 v75, vcc_lo, 0, v73, vcc_lo
	;; [unrolled: 2-line block ×5, first 2 shown]
	s_waitcnt vmcnt(9) lgkmcnt(10)
	v_mul_f64 v[92:93], v[4:5], v[70:71]
	v_mul_f64 v[70:71], v[6:7], v[70:71]
	s_waitcnt vmcnt(8) lgkmcnt(8)
	v_mul_f64 v[94:95], v[0:1], v[54:55]
	v_mul_f64 v[54:55], v[2:3], v[54:55]
	s_waitcnt vmcnt(7)
	v_mul_f64 v[96:97], v[16:17], v[46:47]
	s_waitcnt vmcnt(4) lgkmcnt(4)
	v_mul_f64 v[102:103], v[20:21], v[66:67]
	s_waitcnt vmcnt(3)
	v_mul_f64 v[104:105], v[28:29], v[58:59]
	s_waitcnt vmcnt(2) lgkmcnt(3)
	v_mul_f64 v[106:107], v[40:41], v[78:79]
	s_waitcnt vmcnt(1) lgkmcnt(1)
	;; [unrolled: 2-line block ×3, first 2 shown]
	v_mul_f64 v[110:111], v[36:37], v[86:87]
	v_mul_f64 v[78:79], v[42:43], v[78:79]
	;; [unrolled: 1-line block ×11, first 2 shown]
	v_fma_f64 v[6:7], v[6:7], v[68:69], v[92:93]
	v_fma_f64 v[4:5], v[68:69], v[4:5], -v[70:71]
	v_fma_f64 v[2:3], v[2:3], v[52:53], v[94:95]
	v_fma_f64 v[0:1], v[52:53], v[0:1], -v[54:55]
	v_fma_f64 v[18:19], v[18:19], v[44:45], v[96:97]
	v_fma_f64 v[22:23], v[22:23], v[64:65], v[102:103]
	;; [unrolled: 1-line block ×6, first 2 shown]
	v_fma_f64 v[38:39], v[76:77], v[40:41], -v[78:79]
	v_fma_f64 v[32:33], v[80:81], v[32:33], -v[82:83]
	;; [unrolled: 1-line block ×5, first 2 shown]
	v_fma_f64 v[14:15], v[14:15], v[48:49], v[98:99]
	v_fma_f64 v[26:27], v[26:27], v[60:61], v[100:101]
	v_fma_f64 v[24:25], v[60:61], v[24:25], -v[62:63]
	v_fma_f64 v[16:17], v[44:45], v[16:17], -v[46:47]
	;; [unrolled: 1-line block ×3, first 2 shown]
	v_add_co_u32 v44, vcc_lo, 0x2800, v72
	v_add_co_ci_u32_e32 v45, vcc_lo, 0, v73, vcc_lo
	v_add_f64 v[36:37], v[6:7], v[2:3]
	v_add_f64 v[56:57], v[6:7], -v[2:3]
	v_add_f64 v[66:67], v[4:5], -v[0:1]
	v_add_f64 v[82:83], v[4:5], v[0:1]
	v_add_co_u32 v46, vcc_lo, 0x3000, v72
	v_add_f64 v[52:53], v[30:31], v[42:43]
	v_add_f64 v[54:55], v[34:35], v[68:69]
	v_add_f64 v[64:65], v[34:35], -v[68:69]
	v_add_f64 v[34:35], v[10:11], v[34:35]
	v_add_f64 v[80:81], v[32:33], -v[40:41]
	v_add_f64 v[94:95], v[32:33], v[40:41]
	v_add_f64 v[32:33], v[32:33], v[8:9]
	v_add_f64 v[62:63], v[30:31], -v[42:43]
	v_add_f64 v[78:79], v[28:29], -v[38:39]
	v_add_f64 v[92:93], v[28:29], v[38:39]
	v_add_f64 v[48:49], v[18:19], v[14:15]
	;; [unrolled: 1-line block ×3, first 2 shown]
	v_add_f64 v[60:61], v[26:27], -v[22:23]
	v_add_f64 v[76:77], v[24:25], -v[20:21]
	v_add_f64 v[86:87], v[24:25], v[20:21]
	v_add_f64 v[70:71], v[16:17], -v[12:13]
	v_add_f64 v[58:59], v[18:19], -v[14:15]
	v_add_f64 v[84:85], v[16:17], v[12:13]
	v_mul_f64 v[96:97], v[36:37], s[0:1]
	v_mul_f64 v[106:107], v[56:57], s[22:23]
	;; [unrolled: 1-line block ×7, first 2 shown]
	v_add_f64 v[30:31], v[30:31], v[34:35]
	v_mul_f64 v[126:127], v[54:55], s[6:7]
	v_mul_f64 v[136:137], v[64:65], s[26:27]
	v_add_f64 v[28:29], v[28:29], v[32:33]
	v_mul_f64 v[146:147], v[54:55], s[0:1]
	v_mul_f64 v[156:157], v[64:65], s[22:23]
	;; [unrolled: 1-line block ×18, first 2 shown]
	v_add_f64 v[26:27], v[26:27], v[30:31]
	v_mul_f64 v[144:145], v[52:53], s[18:19]
	v_mul_f64 v[148:149], v[56:57], s[26:27]
	v_add_f64 v[24:25], v[24:25], v[28:29]
	v_mul_f64 v[154:155], v[62:63], s[20:21]
	v_mul_f64 v[158:159], v[36:37], s[14:15]
	;; [unrolled: 1-line block ×11, first 2 shown]
	v_fma_f64 v[34:35], v[70:71], s[8:9], v[98:99]
	v_fma_f64 v[182:183], v[80:81], s[20:21], v[104:105]
	;; [unrolled: 1-line block ×7, first 2 shown]
	v_add_f64 v[18:19], v[18:19], v[26:27]
	v_fma_f64 v[126:127], v[80:81], s[26:27], v[126:127]
	v_fma_f64 v[216:217], v[70:71], s[28:29], v[140:141]
	v_add_f64 v[16:17], v[16:17], v[24:25]
	v_fma_f64 v[222:223], v[80:81], s[10:11], v[146:147]
	v_fma_f64 v[140:141], v[70:71], s[16:17], v[140:141]
	;; [unrolled: 1-line block ×12, first 2 shown]
	v_fma_f64 v[64:65], v[94:95], s[14:15], -v[64:65]
	v_mul_f64 v[108:109], v[58:59], s[24:25]
	v_mul_f64 v[110:111], v[60:61], s[26:27]
	v_mul_f64 v[130:131], v[58:59], s[30:31]
	v_mul_f64 v[132:133], v[60:61], s[16:17]
	v_mul_f64 v[150:151], v[58:59], s[16:17]
	v_mul_f64 v[152:153], v[60:61], s[24:25]
	v_mul_f64 v[170:171], v[58:59], s[10:11]
	v_mul_f64 v[172:173], v[60:61], s[20:21]
	v_mul_f64 v[58:59], v[58:59], s[26:27]
	v_mul_f64 v[60:61], v[60:61], s[22:23]
	v_fma_f64 v[192:193], v[94:95], s[18:19], v[116:117]
	v_fma_f64 v[116:117], v[94:95], s[18:19], -v[116:117]
	v_fma_f64 v[212:213], v[94:95], s[6:7], v[136:137]
	v_fma_f64 v[136:137], v[94:95], s[6:7], -v[136:137]
	;; [unrolled: 2-line block ×4, first 2 shown]
	v_add_f64 v[6:7], v[6:7], v[18:19]
	v_add_f64 v[4:5], v[4:5], v[16:17]
	v_fma_f64 v[32:33], v[66:67], s[10:11], v[96:97]
	v_fma_f64 v[178:179], v[76:77], s[12:13], v[100:101]
	v_fma_f64 v[184:185], v[82:83], s[0:1], v[106:107]
	v_fma_f64 v[96:97], v[66:67], s[22:23], v[96:97]
	v_fma_f64 v[100:101], v[76:77], s[26:27], v[100:101]
	v_fma_f64 v[106:107], v[82:83], s[0:1], -v[106:107]
	v_fma_f64 v[194:195], v[66:67], s[8:9], v[118:119]
	v_fma_f64 v[198:199], v[76:77], s[28:29], v[122:123]
	v_fma_f64 v[204:205], v[82:83], s[4:5], v[128:129]
	v_fma_f64 v[118:119], v[66:67], s[24:25], v[118:119]
	v_fma_f64 v[122:123], v[76:77], s[16:17], v[122:123]
	v_fma_f64 v[128:129], v[82:83], s[4:5], -v[128:129]
	;; [unrolled: 6-line block ×4, first 2 shown]
	v_fma_f64 v[250:251], v[66:67], s[20:21], v[36:37]
	v_fma_f64 v[26:27], v[76:77], s[10:11], v[50:51]
	;; [unrolled: 1-line block ×7, first 2 shown]
	v_fma_f64 v[56:57], v[82:83], s[18:19], -v[56:57]
	v_fma_f64 v[82:83], v[92:93], s[4:5], v[62:63]
	v_fma_f64 v[62:63], v[92:93], s[4:5], -v[62:63]
	v_add_f64 v[54:55], v[10:11], v[54:55]
	v_add_f64 v[64:65], v[8:9], v[64:65]
	v_fma_f64 v[180:181], v[78:79], s[16:17], v[102:103]
	v_fma_f64 v[186:187], v[84:85], s[4:5], v[108:109]
	v_fma_f64 v[188:189], v[86:87], s[6:7], v[110:111]
	v_fma_f64 v[190:191], v[92:93], s[14:15], v[114:115]
	v_fma_f64 v[102:103], v[78:79], s[28:29], v[102:103]
	v_fma_f64 v[108:109], v[84:85], s[4:5], -v[108:109]
	v_fma_f64 v[110:111], v[86:87], s[6:7], -v[110:111]
	v_fma_f64 v[114:115], v[92:93], s[14:15], -v[114:115]
	v_fma_f64 v[200:201], v[78:79], s[22:23], v[124:125]
	v_fma_f64 v[206:207], v[84:85], s[18:19], v[130:131]
	v_fma_f64 v[208:209], v[86:87], s[14:15], v[132:133]
	v_fma_f64 v[210:211], v[92:93], s[0:1], v[134:135]
	v_fma_f64 v[124:125], v[78:79], s[10:11], v[124:125]
	v_fma_f64 v[130:131], v[84:85], s[18:19], -v[130:131]
	v_fma_f64 v[132:133], v[86:87], s[14:15], -v[132:133]
	v_fma_f64 v[134:135], v[92:93], s[0:1], -v[134:135]
	;; [unrolled: 8-line block ×4, first 2 shown]
	v_fma_f64 v[94:95], v[84:85], s[6:7], v[58:59]
	v_fma_f64 v[78:79], v[86:87], s[0:1], v[60:61]
	v_fma_f64 v[58:59], v[84:85], s[6:7], -v[58:59]
	v_fma_f64 v[60:61], v[86:87], s[0:1], -v[60:61]
	v_add_f64 v[16:17], v[10:11], v[182:183]
	v_add_f64 v[18:19], v[8:9], v[192:193]
	;; [unrolled: 1-line block ×108, first 2 shown]
	v_add_co_ci_u32_e32 v47, vcc_lo, 0, v73, vcc_lo
	v_add_co_u32 v48, vcc_lo, 0x3800, v72
	v_add_co_ci_u32_e32 v49, vcc_lo, 0, v73, vcc_lo
	v_add_co_u32 v50, vcc_lo, 0x4000, v72
	;; [unrolled: 2-line block ×3, first 2 shown]
	v_add_co_ci_u32_e32 v53, vcc_lo, 0, v73, vcc_lo
	global_store_dwordx4 v[72:73], v[28:31], off offset:1872
	global_store_dwordx4 v[74:75], v[24:27], off offset:1696
	;; [unrolled: 1-line block ×9, first 2 shown]
	global_store_dwordx4 v[72:73], v[40:43], off
	global_store_dwordx4 v[52:53], v[36:39], off offset:288
.LBB0_25:
	s_endpgm
	.section	.rodata,"a",@progbits
	.p2align	6, 0x0
	.amdhsa_kernel fft_rtc_fwd_len1287_factors_3_13_3_11_wgs_117_tpt_117_dp_ip_CI_unitstride_sbrr_dirReg
		.amdhsa_group_segment_fixed_size 0
		.amdhsa_private_segment_fixed_size 0
		.amdhsa_kernarg_size 88
		.amdhsa_user_sgpr_count 6
		.amdhsa_user_sgpr_private_segment_buffer 1
		.amdhsa_user_sgpr_dispatch_ptr 0
		.amdhsa_user_sgpr_queue_ptr 0
		.amdhsa_user_sgpr_kernarg_segment_ptr 1
		.amdhsa_user_sgpr_dispatch_id 0
		.amdhsa_user_sgpr_flat_scratch_init 0
		.amdhsa_user_sgpr_private_segment_size 0
		.amdhsa_wavefront_size32 1
		.amdhsa_uses_dynamic_stack 0
		.amdhsa_system_sgpr_private_segment_wavefront_offset 0
		.amdhsa_system_sgpr_workgroup_id_x 1
		.amdhsa_system_sgpr_workgroup_id_y 0
		.amdhsa_system_sgpr_workgroup_id_z 0
		.amdhsa_system_sgpr_workgroup_info 0
		.amdhsa_system_vgpr_workitem_id 0
		.amdhsa_next_free_vgpr 252
		.amdhsa_next_free_sgpr 44
		.amdhsa_reserve_vcc 1
		.amdhsa_reserve_flat_scratch 0
		.amdhsa_float_round_mode_32 0
		.amdhsa_float_round_mode_16_64 0
		.amdhsa_float_denorm_mode_32 3
		.amdhsa_float_denorm_mode_16_64 3
		.amdhsa_dx10_clamp 1
		.amdhsa_ieee_mode 1
		.amdhsa_fp16_overflow 0
		.amdhsa_workgroup_processor_mode 1
		.amdhsa_memory_ordered 1
		.amdhsa_forward_progress 0
		.amdhsa_shared_vgpr_count 0
		.amdhsa_exception_fp_ieee_invalid_op 0
		.amdhsa_exception_fp_denorm_src 0
		.amdhsa_exception_fp_ieee_div_zero 0
		.amdhsa_exception_fp_ieee_overflow 0
		.amdhsa_exception_fp_ieee_underflow 0
		.amdhsa_exception_fp_ieee_inexact 0
		.amdhsa_exception_int_div_zero 0
	.end_amdhsa_kernel
	.text
.Lfunc_end0:
	.size	fft_rtc_fwd_len1287_factors_3_13_3_11_wgs_117_tpt_117_dp_ip_CI_unitstride_sbrr_dirReg, .Lfunc_end0-fft_rtc_fwd_len1287_factors_3_13_3_11_wgs_117_tpt_117_dp_ip_CI_unitstride_sbrr_dirReg
                                        ; -- End function
	.section	.AMDGPU.csdata,"",@progbits
; Kernel info:
; codeLenInByte = 11720
; NumSgprs: 46
; NumVgprs: 252
; ScratchSize: 0
; MemoryBound: 1
; FloatMode: 240
; IeeeMode: 1
; LDSByteSize: 0 bytes/workgroup (compile time only)
; SGPRBlocks: 5
; VGPRBlocks: 31
; NumSGPRsForWavesPerEU: 46
; NumVGPRsForWavesPerEU: 252
; Occupancy: 4
; WaveLimiterHint : 1
; COMPUTE_PGM_RSRC2:SCRATCH_EN: 0
; COMPUTE_PGM_RSRC2:USER_SGPR: 6
; COMPUTE_PGM_RSRC2:TRAP_HANDLER: 0
; COMPUTE_PGM_RSRC2:TGID_X_EN: 1
; COMPUTE_PGM_RSRC2:TGID_Y_EN: 0
; COMPUTE_PGM_RSRC2:TGID_Z_EN: 0
; COMPUTE_PGM_RSRC2:TIDIG_COMP_CNT: 0
	.text
	.p2alignl 6, 3214868480
	.fill 48, 4, 3214868480
	.type	__hip_cuid_92ec1d5b9179fc27,@object ; @__hip_cuid_92ec1d5b9179fc27
	.section	.bss,"aw",@nobits
	.globl	__hip_cuid_92ec1d5b9179fc27
__hip_cuid_92ec1d5b9179fc27:
	.byte	0                               ; 0x0
	.size	__hip_cuid_92ec1d5b9179fc27, 1

	.ident	"AMD clang version 19.0.0git (https://github.com/RadeonOpenCompute/llvm-project roc-6.4.0 25133 c7fe45cf4b819c5991fe208aaa96edf142730f1d)"
	.section	".note.GNU-stack","",@progbits
	.addrsig
	.addrsig_sym __hip_cuid_92ec1d5b9179fc27
	.amdgpu_metadata
---
amdhsa.kernels:
  - .args:
      - .actual_access:  read_only
        .address_space:  global
        .offset:         0
        .size:           8
        .value_kind:     global_buffer
      - .offset:         8
        .size:           8
        .value_kind:     by_value
      - .actual_access:  read_only
        .address_space:  global
        .offset:         16
        .size:           8
        .value_kind:     global_buffer
      - .actual_access:  read_only
        .address_space:  global
        .offset:         24
        .size:           8
        .value_kind:     global_buffer
      - .offset:         32
        .size:           8
        .value_kind:     by_value
      - .actual_access:  read_only
        .address_space:  global
        .offset:         40
        .size:           8
        .value_kind:     global_buffer
      - .actual_access:  read_only
        .address_space:  global
        .offset:         48
        .size:           8
        .value_kind:     global_buffer
      - .offset:         56
        .size:           4
        .value_kind:     by_value
      - .actual_access:  read_only
        .address_space:  global
        .offset:         64
        .size:           8
        .value_kind:     global_buffer
      - .actual_access:  read_only
        .address_space:  global
        .offset:         72
        .size:           8
        .value_kind:     global_buffer
      - .address_space:  global
        .offset:         80
        .size:           8
        .value_kind:     global_buffer
    .group_segment_fixed_size: 0
    .kernarg_segment_align: 8
    .kernarg_segment_size: 88
    .language:       OpenCL C
    .language_version:
      - 2
      - 0
    .max_flat_workgroup_size: 117
    .name:           fft_rtc_fwd_len1287_factors_3_13_3_11_wgs_117_tpt_117_dp_ip_CI_unitstride_sbrr_dirReg
    .private_segment_fixed_size: 0
    .sgpr_count:     46
    .sgpr_spill_count: 0
    .symbol:         fft_rtc_fwd_len1287_factors_3_13_3_11_wgs_117_tpt_117_dp_ip_CI_unitstride_sbrr_dirReg.kd
    .uniform_work_group_size: 1
    .uses_dynamic_stack: false
    .vgpr_count:     252
    .vgpr_spill_count: 0
    .wavefront_size: 32
    .workgroup_processor_mode: 1
amdhsa.target:   amdgcn-amd-amdhsa--gfx1030
amdhsa.version:
  - 1
  - 2
...

	.end_amdgpu_metadata
